;; amdgpu-corpus repo=ROCm/rocFFT kind=compiled arch=gfx906 opt=O3
	.text
	.amdgcn_target "amdgcn-amd-amdhsa--gfx906"
	.amdhsa_code_object_version 6
	.protected	fft_rtc_fwd_len243_factors_3_3_3_3_3_wgs_216_tpt_27_dp_op_CI_CI_sbrc_xy_z_unaligned_dirReg ; -- Begin function fft_rtc_fwd_len243_factors_3_3_3_3_3_wgs_216_tpt_27_dp_op_CI_CI_sbrc_xy_z_unaligned_dirReg
	.globl	fft_rtc_fwd_len243_factors_3_3_3_3_3_wgs_216_tpt_27_dp_op_CI_CI_sbrc_xy_z_unaligned_dirReg
	.p2align	8
	.type	fft_rtc_fwd_len243_factors_3_3_3_3_3_wgs_216_tpt_27_dp_op_CI_CI_sbrc_xy_z_unaligned_dirReg,@function
fft_rtc_fwd_len243_factors_3_3_3_3_3_wgs_216_tpt_27_dp_op_CI_CI_sbrc_xy_z_unaligned_dirReg: ; @fft_rtc_fwd_len243_factors_3_3_3_3_3_wgs_216_tpt_27_dp_op_CI_CI_sbrc_xy_z_unaligned_dirReg
; %bb.0:
	s_load_dwordx4 s[0:3], s[4:5], 0x10
	s_load_dwordx2 s[24:25], s[4:5], 0x20
	s_mov_b32 s7, 0
	s_mov_b32 s9, s7
	s_waitcnt lgkmcnt(0)
	s_load_dwordx4 s[12:15], s[0:1], 0x8
	s_load_dwordx4 s[16:19], s[2:3], 0x0
	s_load_dwordx2 s[20:21], s[2:3], 0x10
	s_waitcnt lgkmcnt(0)
	s_add_i32 s0, s14, -1
	s_lshr_b32 s0, s0, 3
	s_add_i32 s0, s0, 1
	s_mul_i32 s0, s0, s12
	v_cvt_f32_u32_e32 v1, s0
	s_sub_i32 s1, 0, s0
	v_rcp_iflag_f32_e32 v1, v1
	v_mul_f32_e32 v1, 0x4f7ffffe, v1
	v_cvt_u32_f32_e32 v3, v1
	v_mov_b32_e32 v1, s12
	v_mov_b32_e32 v2, s13
	v_readfirstlane_b32 s8, v3
	s_mul_i32 s1, s1, s8
	s_mul_hi_u32 s1, s8, s1
	s_add_i32 s8, s8, s1
	s_mul_hi_u32 s1, s6, s8
	s_mul_i32 s8, s1, s0
	s_sub_i32 s8, s6, s8
	s_add_i32 s10, s1, 1
	s_sub_i32 s11, s8, s0
	s_cmp_ge_u32 s8, s0
	s_cselect_b32 s1, s10, s1
	s_cselect_b32 s8, s11, s8
	s_add_i32 s10, s1, 1
	s_cmp_ge_u32 s8, s0
	s_cselect_b32 s15, s10, s1
	s_mul_i32 s0, s15, s0
	s_sub_i32 s8, s6, s0
	v_cmp_lt_u64_e32 vcc, s[8:9], v[1:2]
	v_cvt_f32_u32_e32 v1, s12
	s_mov_b64 s[0:1], 0
	s_cbranch_vccnz .LBB0_2
; %bb.1:
	v_rcp_iflag_f32_e32 v2, v1
	s_sub_i32 s0, 0, s12
	v_mul_f32_e32 v2, 0x4f7ffffe, v2
	v_cvt_u32_f32_e32 v2, v2
	v_readfirstlane_b32 s1, v2
	s_mul_i32 s0, s0, s1
	s_mul_hi_u32 s0, s1, s0
	s_add_i32 s1, s1, s0
	s_mul_hi_u32 s0, s8, s1
	s_mul_i32 s9, s0, s12
	s_sub_i32 s8, s8, s9
	s_add_i32 s1, s0, 1
	s_sub_i32 s9, s8, s12
	s_cmp_ge_u32 s8, s12
	s_cselect_b32 s0, s1, s0
	s_cselect_b32 s8, s9, s8
	s_add_i32 s1, s0, 1
	s_cmp_ge_u32 s8, s12
	s_cselect_b32 s0, s1, s0
.LBB0_2:
	s_load_dwordx2 s[22:23], s[4:5], 0x58
	v_mov_b32_e32 v2, s12
	v_mov_b32_e32 v3, s13
	v_cmp_lt_u64_e32 vcc, s[6:7], v[2:3]
	s_cbranch_vccnz .LBB0_4
; %bb.3:
	v_rcp_iflag_f32_e32 v1, v1
	s_sub_i32 s1, 0, s12
	v_mul_f32_e32 v1, 0x4f7ffffe, v1
	v_cvt_u32_f32_e32 v1, v1
	v_readfirstlane_b32 s7, v1
	s_mul_i32 s1, s1, s7
	s_mul_hi_u32 s1, s7, s1
	s_add_i32 s7, s7, s1
	s_mul_hi_u32 s1, s6, s7
	s_mul_i32 s1, s1, s12
	s_sub_i32 s1, s6, s1
	s_sub_i32 s6, s1, s12
	s_cmp_ge_u32 s1, s12
	s_cselect_b32 s1, s6, s1
	s_sub_i32 s6, s1, s12
	s_cmp_ge_u32 s1, s12
	s_cselect_b32 s6, s6, s1
.LBB0_4:
	s_load_dwordx4 s[8:11], s[4:5], 0x0
	s_lshl_b32 s28, s0, 3
	s_mul_i32 s1, s6, s18
	s_mul_i32 s0, s28, s20
	s_add_i32 s7, s1, s0
	s_waitcnt lgkmcnt(0)
	s_lshl_b64 s[10:11], s[10:11], 3
	s_add_u32 s18, s2, s10
	s_addc_u32 s19, s3, s11
	s_load_dwordx2 s[26:27], s[18:19], 0x0
	s_load_dwordx4 s[0:3], s[24:25], 0x0
	s_load_dwordx2 s[12:13], s[24:25], 0x10
	s_waitcnt lgkmcnt(0)
	s_mul_i32 s3, s27, s15
	s_mul_hi_u32 s13, s26, s15
	s_mul_i32 s18, s26, s15
	s_add_i32 s13, s13, s3
	s_add_u32 s26, s18, s7
	s_addc_u32 s27, s13, 0
	s_add_u32 s10, s24, s10
	s_addc_u32 s11, s25, s11
	s_load_dwordx2 s[10:11], s[10:11], 0x0
	s_add_i32 s3, s28, 8
	s_cmp_le_u32 s3, s14
	s_cselect_b64 s[18:19], -1, 0
	s_mov_b64 s[24:25], -1
	s_and_b64 vcc, exec, s[18:19]
	s_cbranch_vccnz .LBB0_8
; %bb.5:
	s_lshl_b64 s[24:25], s[26:27], 4
	s_add_u32 s3, s22, s24
	s_addc_u32 s13, s23, s25
	s_mov_b64 s[24:25], 0
	s_movk_i32 s7, 0xdb3
	v_mov_b32_e32 v2, 0
	v_mov_b32_e32 v3, s13
	s_movk_i32 s13, 0x797
	v_mov_b32_e32 v4, v0
.LBB0_6:                                ; =>This Inner Loop Header: Depth=1
	v_mul_u32_u24_sdwa v1, v4, s7 dst_sel:DWORD dst_unused:UNUSED_PAD src0_sel:WORD_0 src1_sel:DWORD
	v_sub_u16_sdwa v5, v4, v1 dst_sel:DWORD dst_unused:UNUSED_PAD src0_sel:DWORD src1_sel:WORD_1
	v_lshrrev_b16_e32 v5, 1, v5
	v_add_u16_sdwa v1, v5, v1 dst_sel:DWORD dst_unused:UNUSED_PAD src0_sel:DWORD src1_sel:WORD_1
	v_lshrrev_b16_e32 v11, 7, v1
	v_mul_lo_u16_e32 v5, 0xf3, v11
	v_sub_u16_e32 v12, v4, v5
	v_mul_lo_u32 v1, s20, v11
	v_mad_u64_u32 v[5:6], s[30:31], s16, v12, 0
	v_add_u32_e32 v4, 0xd8, v4
	v_lshlrev_b64 v[7:8], 4, v[1:2]
	v_mov_b32_e32 v1, v6
	v_mad_u64_u32 v[9:10], s[30:31], s17, v12, v[1:2]
	v_mov_b32_e32 v6, v9
	v_lshlrev_b64 v[5:6], 4, v[5:6]
	v_add_co_u32_e32 v1, vcc, s3, v5
	v_addc_co_u32_e32 v6, vcc, v3, v6, vcc
	v_add_co_u32_e32 v5, vcc, v1, v7
	v_addc_co_u32_e32 v6, vcc, v6, v8, vcc
	global_load_dwordx4 v[5:8], v[5:6], off
	v_lshlrev_b16_e32 v1, 3, v12
	v_cmp_lt_u32_e32 vcc, s13, v4
	v_add_u16_e32 v1, v1, v11
	s_or_b64 s[24:25], vcc, s[24:25]
	v_lshl_add_u32 v1, v1, 4, 0
	s_waitcnt vmcnt(0)
	ds_write_b128 v1, v[5:8]
	s_andn2_b64 exec, exec, s[24:25]
	s_cbranch_execnz .LBB0_6
; %bb.7:
	s_or_b64 exec, exec, s[24:25]
	s_mov_b64 s[24:25], 0
.LBB0_8:
	s_and_b64 vcc, exec, s[24:25]
	s_cbranch_vccz .LBB0_10
; %bb.9:
	v_mul_u32_u24_e32 v1, 0x10e, v0
	v_lshrrev_b32_e32 v37, 16, v1
	v_mul_lo_u16_e32 v1, 0xf3, v37
	v_sub_u16_e32 v38, v0, v1
	v_mad_u64_u32 v[1:2], s[24:25], s16, v38, 0
	v_mul_lo_u32 v33, s20, v37
	v_mov_b32_e32 v34, 0
	v_mad_u64_u32 v[2:3], s[24:25], s17, v38, v[2:3]
	v_add_u16_e32 v3, 0xd8, v0
	v_mul_u32_u24_e32 v4, 0x10e, v3
	v_lshrrev_b32_e32 v39, 16, v4
	s_lshl_b64 s[24:25], s[26:27], 4
	v_mul_lo_u16_e32 v4, 0xf3, v39
	s_add_u32 s3, s22, s24
	v_sub_u16_e32 v40, v3, v4
	s_addc_u32 s7, s23, s25
	v_mad_u64_u32 v[3:4], s[22:23], s16, v40, 0
	v_lshlrev_b64 v[1:2], 4, v[1:2]
	v_mov_b32_e32 v5, s7
	v_add_co_u32_e32 v6, vcc, s3, v1
	v_addc_co_u32_e32 v7, vcc, v5, v2, vcc
	v_mad_u64_u32 v[4:5], s[22:23], s17, v40, v[4:5]
	v_lshlrev_b64 v[1:2], 4, v[33:34]
	v_mul_lo_u32 v33, s20, v39
	v_add_co_u32_e32 v9, vcc, v6, v1
	v_addc_co_u32_e32 v10, vcc, v7, v2, vcc
	v_lshlrev_b64 v[1:2], 4, v[3:4]
	v_add_u16_e32 v3, 0x1b0, v0
	v_mul_u32_u24_e32 v4, 0x437, v3
	v_lshrrev_b32_e32 v41, 18, v4
	v_mul_lo_u16_e32 v4, 0xf3, v41
	v_sub_u16_e32 v42, v3, v4
	v_mad_u64_u32 v[3:4], s[22:23], s16, v42, 0
	v_mov_b32_e32 v5, s7
	v_add_co_u32_e32 v6, vcc, s3, v1
	v_addc_co_u32_e32 v7, vcc, v5, v2, vcc
	v_mad_u64_u32 v[4:5], s[22:23], s17, v42, v[4:5]
	v_lshlrev_b64 v[1:2], 4, v[33:34]
	v_mul_lo_u32 v33, s20, v41
	v_add_co_u32_e32 v11, vcc, v6, v1
	v_addc_co_u32_e32 v12, vcc, v7, v2, vcc
	v_lshlrev_b64 v[1:2], 4, v[3:4]
	v_add_u16_e32 v4, 0x288, v0
	v_mul_u32_u24_e32 v5, 0x437, v4
	v_lshrrev_b32_e32 v43, 18, v5
	v_mul_lo_u16_e32 v5, 0xf3, v43
	v_sub_u16_e32 v44, v4, v5
	v_mad_u64_u32 v[13:14], s[22:23], s16, v44, 0
	v_mov_b32_e32 v3, s7
	v_add_co_u32_e32 v4, vcc, s3, v1
	v_addc_co_u32_e32 v5, vcc, v3, v2, vcc
	v_mov_b32_e32 v3, v14
	v_lshlrev_b64 v[1:2], 4, v[33:34]
	v_mad_u64_u32 v[14:15], s[22:23], s17, v44, v[3:4]
	v_add_co_u32_e32 v17, vcc, v4, v1
	v_addc_co_u32_e32 v18, vcc, v5, v2, vcc
	global_load_dwordx4 v[1:4], v[9:10], off
	global_load_dwordx4 v[5:8], v[11:12], off
	v_add_u16_e32 v12, 0x360, v0
	v_lshlrev_b64 v[9:10], 4, v[13:14]
	v_mul_u32_u24_e32 v13, 0x437, v12
	v_lshrrev_b32_e32 v45, 18, v13
	v_mul_lo_u16_e32 v13, 0xf3, v45
	v_sub_u16_e32 v46, v12, v13
	v_mad_u64_u32 v[19:20], s[22:23], s16, v46, 0
	v_mul_lo_u32 v33, s20, v43
	v_mov_b32_e32 v11, s7
	v_add_co_u32_e32 v12, vcc, s3, v9
	v_addc_co_u32_e32 v13, vcc, v11, v10, vcc
	v_mov_b32_e32 v11, v20
	v_mad_u64_u32 v[20:21], s[22:23], s17, v46, v[11:12]
	v_lshlrev_b64 v[9:10], 4, v[33:34]
	v_mul_lo_u32 v33, s20, v45
	v_add_co_u32_e32 v21, vcc, v12, v9
	v_addc_co_u32_e32 v22, vcc, v13, v10, vcc
	global_load_dwordx4 v[9:12], v[17:18], off
	global_load_dwordx4 v[13:16], v[21:22], off
	v_lshlrev_b64 v[17:18], 4, v[19:20]
	v_add_u16_e32 v19, 0x438, v0
	v_mul_u32_u24_e32 v20, 0x437, v19
	v_lshrrev_b32_e32 v47, 18, v20
	v_mul_lo_u16_e32 v20, 0xf3, v47
	v_sub_u16_e32 v48, v19, v20
	v_mad_u64_u32 v[19:20], s[22:23], s16, v48, 0
	v_mov_b32_e32 v21, s7
	v_add_co_u32_e32 v22, vcc, s3, v17
	v_addc_co_u32_e32 v23, vcc, v21, v18, vcc
	v_mad_u64_u32 v[20:21], s[22:23], s17, v48, v[20:21]
	v_lshlrev_b64 v[17:18], 4, v[33:34]
	v_mul_lo_u32 v33, s20, v47
	v_add_co_u32_e32 v25, vcc, v22, v17
	v_addc_co_u32_e32 v26, vcc, v23, v18, vcc
	v_lshlrev_b64 v[17:18], 4, v[19:20]
	v_add_u16_e32 v20, 0x510, v0
	v_mul_u32_u24_e32 v21, 0x437, v20
	v_lshrrev_b32_e32 v49, 18, v21
	v_mul_lo_u16_e32 v21, 0xf3, v49
	v_sub_u16_e32 v50, v20, v21
	v_mad_u64_u32 v[27:28], s[22:23], s16, v50, 0
	v_mov_b32_e32 v19, s7
	v_add_co_u32_e32 v20, vcc, s3, v17
	v_addc_co_u32_e32 v21, vcc, v19, v18, vcc
	v_mov_b32_e32 v19, v28
	v_mad_u64_u32 v[28:29], s[22:23], s17, v50, v[19:20]
	v_lshlrev_b64 v[17:18], 4, v[33:34]
	v_mul_lo_u32 v33, s20, v49
	v_add_co_u32_e32 v29, vcc, v20, v17
	v_addc_co_u32_e32 v30, vcc, v21, v18, vcc
	global_load_dwordx4 v[17:20], v[25:26], off
	global_load_dwordx4 v[21:24], v[29:30], off
	v_lshlrev_b64 v[25:26], 4, v[27:28]
	v_add_u16_e32 v27, 0x5e8, v0
	v_mul_u32_u24_e32 v28, 0x437, v27
	v_lshrrev_b32_e32 v51, 18, v28
	v_mul_lo_u16_e32 v28, 0xf3, v51
	v_sub_u16_e32 v52, v27, v28
	v_mad_u64_u32 v[27:28], s[22:23], s16, v52, 0
	v_mov_b32_e32 v29, s7
	v_add_co_u32_e32 v30, vcc, s3, v25
	v_addc_co_u32_e32 v31, vcc, v29, v26, vcc
	v_lshlrev_b64 v[25:26], 4, v[33:34]
	v_mad_u64_u32 v[28:29], s[22:23], s17, v52, v[28:29]
	v_add_u16_e32 v29, 0x6c0, v0
	v_add_co_u32_e32 v25, vcc, v30, v25
	v_mul_u32_u24_e32 v30, 0x437, v29
	v_lshrrev_b32_e32 v53, 18, v30
	v_mul_lo_u16_e32 v30, 0xf3, v53
	v_sub_u16_e32 v54, v29, v30
	v_mad_u64_u32 v[29:30], s[22:23], s16, v54, 0
	v_mul_lo_u32 v33, s20, v51
	v_lshlrev_b64 v[27:28], 4, v[27:28]
	v_addc_co_u32_e32 v26, vcc, v31, v26, vcc
	v_mov_b32_e32 v31, s7
	v_add_co_u32_e32 v32, vcc, s3, v27
	v_addc_co_u32_e32 v35, vcc, v31, v28, vcc
	v_mad_u64_u32 v[30:31], s[16:17], s17, v54, v[30:31]
	v_lshlrev_b64 v[27:28], 4, v[33:34]
	v_mul_lo_u32 v33, s20, v53
	v_add_co_u32_e32 v31, vcc, v32, v27
	v_addc_co_u32_e32 v32, vcc, v35, v28, vcc
	global_load_dwordx4 v[25:28], v[25:26], off
	v_lshlrev_b64 v[29:30], 4, v[29:30]
	v_mov_b32_e32 v35, s7
	v_add_co_u32_e32 v36, vcc, s3, v29
	v_lshlrev_b64 v[33:34], 4, v[33:34]
	v_addc_co_u32_e32 v35, vcc, v35, v30, vcc
	global_load_dwordx4 v[29:32], v[31:32], off
	v_add_co_u32_e32 v33, vcc, v36, v33
	v_addc_co_u32_e32 v34, vcc, v35, v34, vcc
	global_load_dwordx4 v[33:36], v[33:34], off
	v_lshlrev_b16_e32 v38, 3, v38
	v_or_b32_e32 v37, v38, v37
	v_and_b32_e32 v37, 0xffff, v37
	v_lshl_add_u32 v37, v37, 4, 0
	s_waitcnt vmcnt(8)
	ds_write_b128 v37, v[1:4]
	v_lshlrev_b16_e32 v1, 3, v40
	v_lshlrev_b16_e32 v2, 3, v42
	v_or_b32_e32 v1, v1, v39
	v_or_b32_e32 v2, v2, v41
	v_and_b32_e32 v1, 0xffff, v1
	v_and_b32_e32 v2, 0xffff, v2
	v_lshl_add_u32 v1, v1, 4, 0
	s_waitcnt vmcnt(7)
	ds_write_b128 v1, v[5:8]
	v_lshl_add_u32 v1, v2, 4, 0
	s_waitcnt vmcnt(6)
	ds_write_b128 v1, v[9:12]
	v_lshlrev_b16_e32 v1, 3, v44
	v_or_b32_e32 v1, v1, v43
	v_and_b32_e32 v1, 0xffff, v1
	v_lshl_add_u32 v1, v1, 4, 0
	s_waitcnt vmcnt(5)
	ds_write_b128 v1, v[13:16]
	v_lshlrev_b16_e32 v1, 3, v46
	v_add_u16_e32 v1, v1, v45
	v_lshl_add_u32 v1, v1, 4, 0
	s_waitcnt vmcnt(4)
	ds_write_b128 v1, v[17:20]
	v_lshlrev_b16_e32 v1, 3, v48
	v_or_b32_e32 v1, v1, v47
	v_and_b32_e32 v1, 0xffff, v1
	v_lshl_add_u32 v1, v1, 4, 0
	s_waitcnt vmcnt(3)
	ds_write_b128 v1, v[21:24]
	v_lshlrev_b16_e32 v1, 3, v50
	v_add_u16_e32 v1, v1, v49
	v_lshl_add_u32 v1, v1, 4, 0
	s_waitcnt vmcnt(2)
	ds_write_b128 v1, v[25:28]
	v_lshlrev_b16_e32 v1, 3, v52
	v_add_u16_e32 v1, v1, v51
	v_lshl_add_u32 v1, v1, 4, 0
	s_waitcnt vmcnt(1)
	ds_write_b128 v1, v[29:32]
	v_lshlrev_b16_e32 v1, 3, v54
	v_add_u16_e32 v1, v1, v53
	v_lshl_add_u32 v1, v1, 4, 0
	s_waitcnt vmcnt(0)
	ds_write_b128 v1, v[33:36]
.LBB0_10:
	v_and_b32_e32 v3, 7, v0
	v_lshrrev_b32_e32 v5, 3, v0
	v_lshlrev_b32_e32 v1, 7, v5
	v_lshlrev_b32_e32 v8, 4, v3
	v_add3_u32 v4, 0, v1, v8
	s_waitcnt lgkmcnt(0)
	s_barrier
	ds_read_b128 v[9:12], v4 offset:10368
	ds_read_b128 v[13:16], v4
	ds_read_b128 v[17:20], v4 offset:3456
	ds_read_b128 v[21:24], v4 offset:6912
	;; [unrolled: 1-line block ×6, first 2 shown]
	s_waitcnt lgkmcnt(6)
	v_add_f64 v[1:2], v[13:14], v[9:10]
	v_add_f64 v[6:7], v[15:16], v[11:12]
	s_waitcnt lgkmcnt(3)
	v_add_f64 v[45:46], v[17:18], v[25:26]
	s_waitcnt lgkmcnt(2)
	v_add_f64 v[47:48], v[11:12], -v[31:32]
	v_add_f64 v[49:50], v[11:12], v[31:32]
	v_add_f64 v[51:52], v[9:10], -v[29:30]
	s_waitcnt lgkmcnt(1)
	v_add_f64 v[53:54], v[23:24], v[35:36]
	s_mov_b32 s16, 0xe8584caa
	v_add_f64 v[41:42], v[1:2], v[29:30]
	v_add_f64 v[1:2], v[19:20], v[27:28]
	v_add_f64 v[43:44], v[6:7], v[31:32]
	v_add_f64 v[6:7], v[9:10], v[29:30]
	ds_read_b128 v[29:32], v4 offset:27648
	s_waitcnt lgkmcnt(1)
	v_add_f64 v[9:10], v[45:46], v[37:38]
	v_add_f64 v[45:46], v[21:22], v[33:34]
	v_add_f64 v[55:56], v[27:28], -v[39:40]
	s_mov_b32 s17, 0x3febb67a
	v_add_f64 v[11:12], v[1:2], v[39:40]
	v_add_f64 v[1:2], v[25:26], v[37:38]
	v_add_f64 v[39:40], v[27:28], v[39:40]
	v_add_f64 v[37:38], v[25:26], -v[37:38]
	s_waitcnt lgkmcnt(0)
	v_add_f64 v[57:58], v[35:36], v[31:32]
	v_add_f64 v[25:26], v[45:46], v[29:30]
	;; [unrolled: 1-line block ×3, first 2 shown]
	v_add_f64 v[59:60], v[33:34], -v[29:30]
	v_fma_f64 v[6:7], v[6:7], -0.5, v[13:14]
	v_fma_f64 v[29:30], v[49:50], -0.5, v[15:16]
	;; [unrolled: 1-line block ×3, first 2 shown]
	s_mov_b32 s21, 0xbfebb67a
	s_mov_b32 s20, s16
	v_add_f64 v[27:28], v[53:54], v[31:32]
	v_add_f64 v[53:54], v[35:36], -v[31:32]
	v_fma_f64 v[35:36], v[39:40], -0.5, v[19:20]
	v_fma_f64 v[13:14], v[47:48], s[16:17], v[6:7]
	v_fma_f64 v[17:18], v[47:48], s[20:21], v[6:7]
	;; [unrolled: 1-line block ×6, first 2 shown]
	v_fma_f64 v[1:2], v[45:46], -0.5, v[21:22]
	v_fma_f64 v[6:7], v[57:58], -0.5, v[23:24]
	v_lshl_add_u32 v61, v5, 8, v4
	s_barrier
	ds_write_b128 v61, v[41:44]
	ds_write_b128 v61, v[13:16] offset:128
	v_fma_f64 v[31:32], v[37:38], s[20:21], v[35:36]
	v_fma_f64 v[13:14], v[53:54], s[16:17], v[1:2]
	;; [unrolled: 1-line block ×6, first 2 shown]
	ds_write_b128 v61, v[17:20] offset:256
	ds_write_b128 v61, v[9:12] offset:10368
	ds_write_b128 v61, v[29:32] offset:10496
	ds_write_b128 v61, v[33:36] offset:10624
	ds_write_b128 v61, v[25:28] offset:20736
	v_add_u32_e32 v9, 0x5000, v61
	s_mov_b32 s3, 0x55555556
	ds_write2_b64 v9, v[13:14], v[15:16] offset0:48 offset1:49
	ds_write2_b64 v9, v[1:2], v[6:7] offset0:64 offset1:65
	v_mul_hi_u32 v1, v5, s3
	s_waitcnt lgkmcnt(0)
	s_barrier
	v_lshl_add_u32 v1, v1, 1, v1
	v_sub_u32_e32 v60, v5, v1
	v_lshlrev_b32_e32 v1, 5, v60
	global_load_dwordx4 v[12:15], v1, s[8:9]
	global_load_dwordx4 v[16:19], v1, s[8:9] offset:16
	v_add_u32_e32 v6, 27, v5
	v_mul_hi_u32 v62, v6, s3
	v_mov_b32_e32 v2, 0
	v_add_u32_e32 v7, 54, v5
	v_mul_hi_u32 v64, v7, s3
	v_mul_u32_u24_e32 v1, 3, v62
	v_sub_u32_e32 v63, v6, v1
	v_lshlrev_b32_e32 v1, 1, v63
	v_lshlrev_b64 v[9:10], 4, v[1:2]
	v_mov_b32_e32 v11, s9
	v_add_co_u32_e32 v9, vcc, s8, v9
	v_addc_co_u32_e32 v10, vcc, v11, v10, vcc
	global_load_dwordx4 v[20:23], v[9:10], off
	global_load_dwordx4 v[24:27], v[9:10], off offset:16
	v_mul_u32_u24_e32 v1, 3, v64
	v_sub_u32_e32 v65, v7, v1
	v_lshlrev_b32_e32 v1, 1, v65
	v_lshlrev_b64 v[9:10], 4, v[1:2]
	v_add_u32_e32 v1, 0x2880, v61
	v_add_co_u32_e32 v9, vcc, s8, v9
	v_addc_co_u32_e32 v10, vcc, v11, v10, vcc
	global_load_dwordx4 v[28:31], v[9:10], off
	global_load_dwordx4 v[32:35], v[9:10], off offset:16
	ds_read_b128 v[36:39], v4 offset:10368
	ds_read_b128 v[40:43], v4
	ds_read_b128 v[44:47], v4 offset:20736
	ds_read_b128 v[48:51], v4 offset:24192
	s_mov_b32 s3, 0xaaaaaaab
	s_mov_b32 s7, 0
	s_waitcnt vmcnt(5) lgkmcnt(3)
	v_mul_f64 v[9:10], v[38:39], v[14:15]
	v_mul_f64 v[14:15], v[36:37], v[14:15]
	v_fma_f64 v[36:37], v[36:37], v[12:13], -v[9:10]
	s_waitcnt vmcnt(4) lgkmcnt(1)
	v_mul_f64 v[9:10], v[46:47], v[18:19]
	v_mul_f64 v[18:19], v[44:45], v[18:19]
	v_fma_f64 v[38:39], v[38:39], v[12:13], v[14:15]
	ds_read_b128 v[12:15], v4 offset:13824
	v_fma_f64 v[44:45], v[44:45], v[16:17], -v[9:10]
	v_fma_f64 v[46:47], v[46:47], v[16:17], v[18:19]
	ds_read_b128 v[16:19], v4 offset:17280
	s_waitcnt vmcnt(3) lgkmcnt(1)
	v_mul_f64 v[9:10], v[14:15], v[22:23]
	v_mul_f64 v[22:23], v[12:13], v[22:23]
	v_fma_f64 v[52:53], v[12:13], v[20:21], -v[9:10]
	v_fma_f64 v[54:55], v[14:15], v[20:21], v[22:23]
	s_waitcnt vmcnt(2)
	v_mul_f64 v[12:13], v[48:49], v[26:27]
	s_waitcnt vmcnt(1) lgkmcnt(0)
	v_mul_f64 v[14:15], v[18:19], v[30:31]
	v_mul_f64 v[9:10], v[50:51], v[26:27]
	;; [unrolled: 1-line block ×3, first 2 shown]
	v_fma_f64 v[50:51], v[50:51], v[24:25], v[12:13]
	v_fma_f64 v[56:57], v[16:17], v[28:29], -v[14:15]
	ds_read_b128 v[12:15], v4 offset:27648
	v_fma_f64 v[48:49], v[48:49], v[24:25], -v[9:10]
	v_lshlrev_b32_e32 v9, 8, v6
	v_sub_u32_e32 v9, v1, v9
	v_fma_f64 v[58:59], v[18:19], v[28:29], v[20:21]
	ds_read_b128 v[16:19], v9
	s_waitcnt vmcnt(0) lgkmcnt(1)
	v_mul_f64 v[20:21], v[14:15], v[34:35]
	v_mul_f64 v[22:23], v[12:13], v[34:35]
	v_add_f64 v[24:25], v[36:37], v[44:45]
	v_add_f64 v[28:29], v[36:37], -v[44:45]
	v_mul_hi_u32 v1, v0, s3
	v_add_u32_e32 v10, 0x5100, v61
	s_mov_b32 s3, 0x1c71c71d
	v_fma_f64 v[34:35], v[12:13], v[32:33], -v[20:21]
	v_add_f64 v[12:13], v[38:39], v[46:47]
	v_fma_f64 v[32:33], v[14:15], v[32:33], v[22:23]
	v_fma_f64 v[22:23], v[24:25], -0.5, v[40:41]
	v_add_f64 v[14:15], v[42:43], v[38:39]
	v_add_f64 v[20:21], v[40:41], v[36:37]
	v_add_f64 v[24:25], v[38:39], -v[46:47]
	v_add_f64 v[36:37], v[52:53], v[48:49]
	v_add_f64 v[38:39], v[54:55], v[50:51]
	v_fma_f64 v[26:27], v[12:13], -0.5, v[42:43]
	v_lshrrev_b32_e32 v1, 4, v1
	v_mul_u32_u24_e32 v1, 9, v1
	v_add_f64 v[14:15], v[14:15], v[46:47]
	v_add_f64 v[12:13], v[20:21], v[44:45]
	v_fma_f64 v[20:21], v[24:25], s[16:17], v[22:23]
	v_fma_f64 v[24:25], v[24:25], s[20:21], v[22:23]
	v_add_lshl_u32 v1, v1, v60, 7
	v_fma_f64 v[22:23], v[28:29], s[20:21], v[26:27]
	v_fma_f64 v[26:27], v[28:29], s[16:17], v[26:27]
	v_lshlrev_b32_e32 v28, 8, v7
	v_sub_u32_e32 v10, v10, v28
	v_add3_u32 v1, 0, v1, v8
	ds_read2_b64 v[28:31], v10 offset1:1
	s_waitcnt lgkmcnt(0)
	s_barrier
	ds_write_b128 v1, v[12:15]
	v_add_f64 v[12:13], v[18:19], v[54:55]
	v_fma_f64 v[36:37], v[36:37], -0.5, v[16:17]
	v_add_f64 v[16:17], v[16:17], v[52:53]
	v_add_f64 v[40:41], v[54:55], -v[50:51]
	ds_write_b128 v1, v[24:27] offset:768
	v_add_f64 v[24:25], v[56:57], v[34:35]
	ds_write_b128 v1, v[20:23] offset:384
	v_fma_f64 v[22:23], v[38:39], -0.5, v[18:19]
	v_add_f64 v[38:39], v[52:53], -v[48:49]
	v_add_f64 v[26:27], v[58:59], v[32:33]
	v_add_f64 v[14:15], v[12:13], v[50:51]
	;; [unrolled: 1-line block ×3, first 2 shown]
	v_fma_f64 v[16:17], v[40:41], s[16:17], v[36:37]
	v_fma_f64 v[20:21], v[40:41], s[20:21], v[36:37]
	v_fma_f64 v[36:37], v[24:25], -0.5, v[28:29]
	v_add_f64 v[24:25], v[30:31], v[58:59]
	v_add_f64 v[28:29], v[28:29], v[56:57]
	v_fma_f64 v[18:19], v[38:39], s[20:21], v[22:23]
	v_fma_f64 v[22:23], v[38:39], s[16:17], v[22:23]
	v_add_f64 v[38:39], v[58:59], -v[32:33]
	v_fma_f64 v[30:31], v[26:27], -0.5, v[30:31]
	v_add_f64 v[40:41], v[56:57], -v[34:35]
	v_mul_u32_u24_e32 v1, 9, v62
	v_add_lshl_u32 v1, v1, v63, 7
	v_add3_u32 v1, 0, v1, v8
	ds_write_b128 v1, v[12:15]
	v_add_f64 v[14:15], v[24:25], v[32:33]
	v_add_f64 v[12:13], v[28:29], v[34:35]
	v_fma_f64 v[24:25], v[38:39], s[16:17], v[36:37]
	v_fma_f64 v[26:27], v[40:41], s[20:21], v[30:31]
	;; [unrolled: 1-line block ×4, first 2 shown]
	ds_write_b128 v1, v[16:19] offset:384
	ds_write_b128 v1, v[20:23] offset:768
	v_mul_u32_u24_e32 v1, 9, v64
	v_add_lshl_u32 v1, v1, v65, 7
	v_add3_u32 v1, 0, v1, v8
	ds_write_b128 v1, v[12:15]
	ds_write_b128 v1, v[24:27] offset:384
	ds_write_b128 v1, v[28:31] offset:768
	v_mul_hi_u32 v1, v5, s3
	s_waitcnt lgkmcnt(0)
	s_barrier
	v_lshl_add_u32 v1, v1, 3, v1
	v_sub_u32_e32 v60, v5, v1
	v_lshlrev_b32_e32 v1, 5, v60
	global_load_dwordx4 v[12:15], v1, s[8:9] offset:96
	global_load_dwordx4 v[16:19], v1, s[8:9] offset:112
	s_mov_b32 s3, 0x38e38e39
	v_mul_hi_u32 v1, v6, s3
	v_mul_hi_u32 v0, v0, s3
	v_lshrrev_b32_e32 v61, 1, v1
	v_mul_u32_u24_e32 v1, 9, v61
	v_sub_u32_e32 v62, v6, v1
	v_lshlrev_b32_e32 v1, 1, v62
	v_lshlrev_b64 v[20:21], 4, v[1:2]
	v_mul_hi_u32 v1, v7, s3
	v_add_co_u32_e32 v40, vcc, s8, v20
	v_addc_co_u32_e32 v41, vcc, v11, v21, vcc
	global_load_dwordx4 v[20:23], v[40:41], off offset:96
	ds_read_b128 v[24:27], v4 offset:10368
	ds_read_b128 v[28:31], v4 offset:20736
	ds_read_b128 v[32:35], v4
	v_lshrrev_b32_e32 v63, 1, v1
	v_mul_u32_u24_e32 v1, 9, v63
	v_sub_u32_e32 v64, v7, v1
	v_lshlrev_b32_e32 v1, 1, v64
	ds_read_b128 v[36:39], v4 offset:24192
	v_lshrrev_b32_e32 v0, 4, v0
	v_mul_u32_u24_e32 v0, 27, v0
	s_mov_b32 s3, 0x97b425f
	s_waitcnt vmcnt(2) lgkmcnt(3)
	v_mul_f64 v[42:43], v[26:27], v[14:15]
	s_waitcnt vmcnt(1) lgkmcnt(2)
	v_mul_f64 v[44:45], v[30:31], v[18:19]
	v_mul_f64 v[18:19], v[28:29], v[18:19]
	;; [unrolled: 1-line block ×3, first 2 shown]
	v_fma_f64 v[42:43], v[24:25], v[12:13], -v[42:43]
	v_fma_f64 v[44:45], v[28:29], v[16:17], -v[44:45]
	v_fma_f64 v[48:49], v[30:31], v[16:17], v[18:19]
	global_load_dwordx4 v[16:19], v[40:41], off offset:112
	v_fma_f64 v[46:47], v[26:27], v[12:13], v[14:15]
	ds_read_b128 v[12:15], v4 offset:13824
	v_lshlrev_b64 v[24:25], 4, v[1:2]
	v_add_co_u32_e32 v40, vcc, s8, v24
	v_addc_co_u32_e32 v41, vcc, v11, v25, vcc
	ds_read_b128 v[24:27], v4 offset:17280
	global_load_dwordx4 v[28:31], v[40:41], off offset:96
	s_waitcnt vmcnt(2) lgkmcnt(1)
	v_mul_f64 v[50:51], v[14:15], v[22:23]
	v_mul_f64 v[22:23], v[12:13], v[22:23]
	v_fma_f64 v[50:51], v[12:13], v[20:21], -v[50:51]
	v_fma_f64 v[52:53], v[14:15], v[20:21], v[22:23]
	global_load_dwordx4 v[12:15], v[40:41], off offset:112
	s_waitcnt vmcnt(2)
	v_mul_f64 v[20:21], v[38:39], v[18:19]
	v_mul_f64 v[18:19], v[36:37], v[18:19]
	v_fma_f64 v[36:37], v[36:37], v[16:17], -v[20:21]
	v_fma_f64 v[38:39], v[38:39], v[16:17], v[18:19]
	s_waitcnt vmcnt(1) lgkmcnt(0)
	v_mul_f64 v[20:21], v[26:27], v[30:31]
	v_mul_f64 v[22:23], v[24:25], v[30:31]
	ds_read_b128 v[16:19], v4 offset:27648
	v_fma_f64 v[40:41], v[24:25], v[28:29], -v[20:21]
	v_fma_f64 v[54:55], v[26:27], v[28:29], v[22:23]
	ds_read_b128 v[20:23], v9
	s_waitcnt vmcnt(0) lgkmcnt(1)
	v_mul_f64 v[24:25], v[18:19], v[14:15]
	v_mul_f64 v[14:15], v[16:17], v[14:15]
	v_add_f64 v[26:27], v[42:43], v[44:45]
	v_add_f64 v[28:29], v[42:43], -v[44:45]
	v_fma_f64 v[56:57], v[16:17], v[12:13], -v[24:25]
	v_fma_f64 v[58:59], v[18:19], v[12:13], v[14:15]
	v_add_f64 v[12:13], v[46:47], v[48:49]
	v_fma_f64 v[18:19], v[26:27], -0.5, v[32:33]
	v_add_f64 v[14:15], v[34:35], v[46:47]
	v_add_f64 v[16:17], v[32:33], v[42:43]
	v_add_f64 v[24:25], v[46:47], -v[48:49]
	v_add_f64 v[32:33], v[52:53], v[38:39]
	v_fma_f64 v[26:27], v[12:13], -0.5, v[34:35]
	v_add_lshl_u32 v34, v0, v60, 7
	v_add_f64 v[0:1], v[50:51], v[36:37]
	v_add_f64 v[14:15], v[14:15], v[48:49]
	;; [unrolled: 1-line block ×3, first 2 shown]
	v_fma_f64 v[16:17], v[24:25], s[16:17], v[18:19]
	v_fma_f64 v[24:25], v[24:25], s[20:21], v[18:19]
	v_add3_u32 v42, 0, v34, v8
	v_fma_f64 v[18:19], v[28:29], s[20:21], v[26:27]
	v_fma_f64 v[26:27], v[28:29], s[16:17], v[26:27]
	s_waitcnt lgkmcnt(0)
	v_add_f64 v[34:35], v[20:21], v[50:51]
	v_fma_f64 v[0:1], v[0:1], -0.5, v[20:21]
	v_add_f64 v[20:21], v[52:53], -v[38:39]
	ds_read2_b64 v[28:31], v10 offset1:1
	s_waitcnt lgkmcnt(0)
	s_barrier
	ds_write_b128 v42, v[12:15]
	v_add_f64 v[12:13], v[22:23], v[52:53]
	ds_write_b128 v42, v[16:19] offset:1152
	ds_write_b128 v42, v[24:27] offset:2304
	v_add_f64 v[24:25], v[40:41], v[56:57]
	v_add_f64 v[26:27], v[54:55], v[58:59]
	v_fma_f64 v[22:23], v[32:33], -0.5, v[22:23]
	v_add_f64 v[32:33], v[50:51], -v[36:37]
	v_fma_f64 v[16:17], v[20:21], s[16:17], v[0:1]
	v_fma_f64 v[20:21], v[20:21], s[20:21], v[0:1]
	v_mul_u32_u24_e32 v0, 27, v61
	v_add_f64 v[14:15], v[12:13], v[38:39]
	v_add_f64 v[12:13], v[34:35], v[36:37]
	v_add_lshl_u32 v34, v0, v62, 7
	v_fma_f64 v[0:1], v[24:25], -0.5, v[28:29]
	v_fma_f64 v[24:25], v[26:27], -0.5, v[30:31]
	v_add_f64 v[26:27], v[28:29], v[40:41]
	v_add_f64 v[28:29], v[30:31], v[54:55]
	v_fma_f64 v[18:19], v[32:33], s[20:21], v[22:23]
	v_fma_f64 v[22:23], v[32:33], s[16:17], v[22:23]
	v_add_f64 v[30:31], v[54:55], -v[58:59]
	v_add_f64 v[32:33], v[40:41], -v[56:57]
	v_add3_u32 v34, 0, v34, v8
	ds_write_b128 v34, v[12:15]
	ds_write_b128 v34, v[16:19] offset:1152
	ds_write_b128 v34, v[20:23] offset:2304
	v_add_f64 v[12:13], v[26:27], v[56:57]
	v_add_f64 v[14:15], v[28:29], v[58:59]
	v_fma_f64 v[16:17], v[30:31], s[16:17], v[0:1]
	v_fma_f64 v[18:19], v[32:33], s[20:21], v[24:25]
	;; [unrolled: 1-line block ×4, first 2 shown]
	v_mul_hi_u32 v58, v5, s3
	v_mul_u32_u24_e32 v0, 27, v63
	v_add_lshl_u32 v0, v0, v64, 7
	v_add3_u32 v0, 0, v0, v8
	ds_write_b128 v0, v[12:15]
	ds_write_b128 v0, v[16:19] offset:1152
	ds_write_b128 v0, v[20:23] offset:2304
	v_mul_lo_u32 v0, v58, 27
	s_waitcnt lgkmcnt(0)
	s_barrier
	v_sub_u32_e32 v59, v5, v0
	v_lshlrev_b32_e32 v0, 5, v59
	global_load_dwordx4 v[12:15], v0, s[8:9] offset:384
	global_load_dwordx4 v[16:19], v0, s[8:9] offset:400
	s_mov_b32 s3, 0x4bda12f7
	v_mul_hi_u32 v1, v6, s3
	v_mul_hi_u32 v28, v7, s3
	v_lshrrev_b32_e32 v60, 3, v1
	v_mul_u32_u24_e32 v0, 27, v60
	v_sub_u32_e32 v61, v6, v0
	v_lshlrev_b32_e32 v1, 1, v61
	v_lshlrev_b64 v[0:1], 4, v[1:2]
	v_lshrrev_b32_e32 v62, 3, v28
	v_add_co_u32_e32 v0, vcc, s8, v0
	v_addc_co_u32_e32 v1, vcc, v11, v1, vcc
	global_load_dwordx4 v[20:23], v[0:1], off offset:384
	global_load_dwordx4 v[24:27], v[0:1], off offset:400
	v_mul_u32_u24_e32 v0, 27, v62
	v_sub_u32_e32 v63, v7, v0
	v_lshlrev_b32_e32 v1, 1, v63
	v_lshlrev_b64 v[0:1], 4, v[1:2]
	v_add_co_u32_e32 v0, vcc, s8, v0
	v_addc_co_u32_e32 v1, vcc, v11, v1, vcc
	global_load_dwordx4 v[28:31], v[0:1], off offset:384
	global_load_dwordx4 v[32:35], v[0:1], off offset:400
	ds_read_b128 v[36:39], v4 offset:10368
	ds_read_b128 v[40:43], v4
	ds_read_b128 v[44:47], v4 offset:20736
	s_waitcnt vmcnt(5) lgkmcnt(2)
	v_mul_f64 v[0:1], v[38:39], v[14:15]
	v_mul_f64 v[14:15], v[36:37], v[14:15]
	v_fma_f64 v[0:1], v[36:37], v[12:13], -v[0:1]
	v_fma_f64 v[48:49], v[38:39], v[12:13], v[14:15]
	ds_read_b128 v[11:14], v4 offset:24192
	s_waitcnt vmcnt(4) lgkmcnt(1)
	v_mul_f64 v[50:51], v[46:47], v[18:19]
	v_mul_f64 v[18:19], v[44:45], v[18:19]
	ds_read_b128 v[36:39], v4 offset:13824
	v_fma_f64 v[44:45], v[44:45], v[16:17], -v[50:51]
	v_fma_f64 v[46:47], v[46:47], v[16:17], v[18:19]
	ds_read_b128 v[15:18], v4 offset:17280
	s_waitcnt vmcnt(3) lgkmcnt(1)
	v_mul_f64 v[50:51], v[38:39], v[22:23]
	v_mul_f64 v[22:23], v[36:37], v[22:23]
	v_fma_f64 v[36:37], v[36:37], v[20:21], -v[50:51]
	v_fma_f64 v[38:39], v[38:39], v[20:21], v[22:23]
	s_waitcnt vmcnt(2)
	v_mul_f64 v[19:20], v[13:14], v[26:27]
	v_mul_f64 v[21:22], v[11:12], v[26:27]
	s_waitcnt vmcnt(1) lgkmcnt(0)
	v_mul_f64 v[26:27], v[17:18], v[30:31]
	v_mul_f64 v[30:31], v[15:16], v[30:31]
	v_fma_f64 v[50:51], v[11:12], v[24:25], -v[19:20]
	v_fma_f64 v[52:53], v[13:14], v[24:25], v[21:22]
	v_add_f64 v[19:20], v[0:1], v[44:45]
	v_add_f64 v[21:22], v[48:49], v[46:47]
	ds_read_b128 v[11:14], v4 offset:27648
	v_fma_f64 v[54:55], v[15:16], v[28:29], -v[26:27]
	v_fma_f64 v[56:57], v[17:18], v[28:29], v[30:31]
	ds_read_b128 v[15:18], v9
	s_waitcnt vmcnt(0) lgkmcnt(1)
	v_mul_f64 v[23:24], v[13:14], v[34:35]
	v_fma_f64 v[25:26], v[19:20], -0.5, v[40:41]
	v_fma_f64 v[27:28], v[21:22], -0.5, v[42:43]
	v_add_f64 v[19:20], v[42:43], v[48:49]
	v_add_f64 v[21:22], v[40:41], v[0:1]
	v_mul_f64 v[29:30], v[11:12], v[34:35]
	v_add_f64 v[34:35], v[48:49], -v[46:47]
	v_add_f64 v[0:1], v[0:1], -v[44:45]
	v_fma_f64 v[40:41], v[11:12], v[32:33], -v[23:24]
	s_waitcnt lgkmcnt(0)
	v_add_f64 v[42:43], v[15:16], v[36:37]
	v_add_f64 v[11:12], v[21:22], v[44:45]
	v_fma_f64 v[31:32], v[13:14], v[32:33], v[29:30]
	v_add_f64 v[13:14], v[19:20], v[46:47]
	v_fma_f64 v[19:20], v[34:35], s[16:17], v[25:26]
	v_fma_f64 v[23:24], v[34:35], s[20:21], v[25:26]
	;; [unrolled: 1-line block ×4, first 2 shown]
	v_mul_u32_u24_e32 v0, 0x51, v58
	v_add_lshl_u32 v35, v0, v59, 7
	v_add_f64 v[0:1], v[36:37], v[50:51]
	v_add3_u32 v44, 0, v35, v8
	ds_read2_b64 v[27:30], v10 offset1:1
	s_waitcnt lgkmcnt(0)
	s_barrier
	v_add_f64 v[33:34], v[38:39], v[52:53]
	ds_write_b128 v44, v[11:14]
	v_add_f64 v[11:12], v[17:18], v[38:39]
	v_fma_f64 v[0:1], v[0:1], -0.5, v[15:16]
	v_add_f64 v[38:39], v[38:39], -v[52:53]
	v_add_f64 v[35:36], v[36:37], -v[50:51]
	ds_write_b128 v44, v[19:22] offset:3456
	ds_write_b128 v44, v[23:26] offset:6912
	v_fma_f64 v[33:34], v[33:34], -0.5, v[17:18]
	v_add_f64 v[23:24], v[54:55], v[40:41]
	v_mul_u32_u24_e32 v25, 0x51, v60
	v_add_f64 v[13:14], v[11:12], v[52:53]
	v_add_f64 v[11:12], v[42:43], v[50:51]
	v_fma_f64 v[15:16], v[38:39], s[16:17], v[0:1]
	v_fma_f64 v[19:20], v[38:39], s[20:21], v[0:1]
	v_add_f64 v[0:1], v[56:57], v[31:32]
	v_fma_f64 v[17:18], v[35:36], s[20:21], v[33:34]
	v_fma_f64 v[21:22], v[35:36], s[16:17], v[33:34]
	v_add_lshl_u32 v35, v25, v61, 7
	v_fma_f64 v[23:24], v[23:24], -0.5, v[27:28]
	v_add_f64 v[25:26], v[29:30], v[56:57]
	v_add_f64 v[27:28], v[27:28], v[54:55]
	v_add_f64 v[33:34], v[56:57], -v[31:32]
	v_fma_f64 v[0:1], v[0:1], -0.5, v[29:30]
	v_add_f64 v[29:30], v[54:55], -v[40:41]
	v_add3_u32 v35, 0, v35, v8
	ds_write_b128 v35, v[11:14]
	ds_write_b128 v35, v[15:18] offset:3456
	ds_write_b128 v35, v[19:22] offset:6912
	v_add_f64 v[13:14], v[25:26], v[31:32]
	v_add_f64 v[11:12], v[27:28], v[40:41]
	v_fma_f64 v[15:16], v[33:34], s[16:17], v[23:24]
	v_fma_f64 v[23:24], v[33:34], s[20:21], v[23:24]
	;; [unrolled: 1-line block ×4, first 2 shown]
	v_mul_u32_u24_e32 v0, 0x51, v62
	v_add_lshl_u32 v0, v0, v63, 7
	v_add3_u32 v0, 0, v0, v8
	ds_write_b128 v0, v[11:14]
	ds_write_b128 v0, v[15:18] offset:3456
	ds_write_b128 v0, v[23:26] offset:6912
	v_or_b32_e32 v0, s28, v3
	v_cmp_gt_u32_e32 vcc, s14, v0
	s_or_b64 s[18:19], s[18:19], vcc
	s_waitcnt lgkmcnt(0)
	s_barrier
	s_and_saveexec_b64 s[22:23], s[18:19]
	s_cbranch_execz .LBB0_12
; %bb.11:
	s_mov_b32 s3, 0x1948b0fd
	v_mul_hi_u32 v0, v5, s3
	v_mul_hi_u32 v1, v7, s3
	v_mov_b32_e32 v8, s9
	v_mul_hi_u32 v23, v6, s3
	v_lshrrev_b32_e32 v0, 3, v0
	v_mul_u32_u24_e32 v0, 0x51, v0
	v_sub_u32_e32 v5, v5, v0
	v_lshlrev_b32_e32 v0, 5, v5
	global_load_dwordx4 v[11:14], v0, s[8:9] offset:1248
	global_load_dwordx4 v[15:18], v0, s[8:9] offset:1264
	v_lshrrev_b32_e32 v65, 3, v1
	v_mul_u32_u24_e32 v0, 0x51, v65
	v_sub_u32_e32 v0, v7, v0
	v_lshlrev_b32_e32 v1, 1, v0
	v_lshlrev_b64 v[0:1], 4, v[1:2]
	v_lshrrev_b32_e32 v66, 3, v23
	v_add_co_u32_e32 v0, vcc, s8, v0
	v_addc_co_u32_e32 v1, vcc, v8, v1, vcc
	global_load_dwordx4 v[19:22], v[0:1], off offset:1248
	v_mul_u32_u24_e32 v23, 0x51, v66
	v_sub_u32_e32 v27, v6, v23
	global_load_dwordx4 v[23:26], v[0:1], off offset:1264
	v_lshlrev_b32_e32 v1, 1, v27
	v_lshlrev_b64 v[0:1], 4, v[1:2]
	s_mul_i32 s6, s6, s12
	v_add_co_u32_e32 v0, vcc, s8, v0
	v_addc_co_u32_e32 v1, vcc, v8, v1, vcc
	global_load_dwordx4 v[27:30], v[0:1], off offset:1248
	global_load_dwordx4 v[31:34], v[0:1], off offset:1264
	ds_read_b128 v[35:38], v4 offset:10368
	ds_read_b128 v[39:42], v4
	ds_read_b128 v[43:46], v4 offset:20736
	ds_read_b128 v[47:50], v4 offset:24192
	s_mul_i32 s3, s1, s28
	s_mul_hi_u32 s9, s0, s28
	s_mul_i32 s8, s0, s28
	s_load_dwordx2 s[4:5], s[4:5], 0x60
	s_add_i32 s9, s9, s3
	s_lshl_b64 s[8:9], s[8:9], 4
	s_waitcnt vmcnt(5) lgkmcnt(0)
	v_mul_f64 v[0:1], v[37:38], v[13:14]
	v_mul_f64 v[13:14], v[35:36], v[13:14]
	s_waitcnt vmcnt(4)
	v_mul_f64 v[51:52], v[45:46], v[17:18]
	v_mul_f64 v[17:18], v[43:44], v[17:18]
	v_fma_f64 v[53:54], v[35:36], v[11:12], -v[0:1]
	v_fma_f64 v[55:56], v[37:38], v[11:12], v[13:14]
	ds_read_b128 v[11:14], v4 offset:17280
	ds_read_b128 v[35:38], v4 offset:13824
	v_fma_f64 v[43:44], v[43:44], v[15:16], -v[51:52]
	v_fma_f64 v[45:46], v[45:46], v[15:16], v[17:18]
	v_mad_u64_u32 v[51:52], s[12:13], s0, v3, 0
	s_waitcnt vmcnt(3) lgkmcnt(1)
	v_mul_f64 v[0:1], v[13:14], v[21:22]
	v_mul_f64 v[15:16], v[11:12], v[21:22]
	v_fma_f64 v[21:22], v[11:12], v[19:20], -v[0:1]
	v_fma_f64 v[19:20], v[13:14], v[19:20], v[15:16]
	ds_read_b128 v[11:14], v4 offset:27648
	ds_read_b128 v[15:18], v9
	v_mov_b32_e32 v0, v52
	v_mad_u64_u32 v[0:1], s[0:1], s1, v3, v[0:1]
	s_waitcnt vmcnt(2) lgkmcnt(1)
	v_mul_f64 v[3:4], v[13:14], v[25:26]
	v_mul_f64 v[8:9], v[11:12], v[25:26]
	s_waitcnt vmcnt(1)
	v_mul_f64 v[25:26], v[37:38], v[29:30]
	v_mul_f64 v[29:30], v[35:36], v[29:30]
	s_mul_i32 s1, s11, s15
	s_mul_hi_u32 s11, s10, s15
	s_add_i32 s1, s11, s1
	s_add_u32 s3, s4, s8
	v_fma_f64 v[3:4], v[11:12], v[23:24], -v[3:4]
	v_fma_f64 v[12:13], v[13:14], v[23:24], v[8:9]
	s_waitcnt vmcnt(0)
	v_mul_f64 v[23:24], v[49:50], v[33:34]
	v_mul_f64 v[33:34], v[47:48], v[33:34]
	v_fma_f64 v[25:26], v[35:36], v[27:28], -v[25:26]
	v_fma_f64 v[27:28], v[37:38], v[27:28], v[29:30]
	ds_read2_b64 v[8:11], v10 offset1:1
	v_add_f64 v[35:36], v[41:42], v[55:56]
	v_add_f64 v[37:38], v[53:54], v[43:44]
	;; [unrolled: 1-line block ×3, first 2 shown]
	v_fma_f64 v[23:24], v[47:48], v[31:32], -v[23:24]
	v_fma_f64 v[29:30], v[49:50], v[31:32], v[33:34]
	v_add_f64 v[33:34], v[55:56], v[45:46]
	v_add_f64 v[47:48], v[55:56], -v[45:46]
	v_add_f64 v[49:50], v[39:40], v[53:54]
	v_add_f64 v[55:56], v[19:20], v[12:13]
	s_waitcnt lgkmcnt(0)
	v_add_f64 v[57:58], v[10:11], v[19:20]
	v_add_f64 v[63:64], v[8:9], v[21:22]
	v_add_f64 v[31:32], v[53:54], -v[43:44]
	v_add_f64 v[53:54], v[21:22], -v[3:4]
	v_fma_f64 v[33:34], v[33:34], -0.5, v[41:42]
	v_add_f64 v[41:42], v[27:28], v[29:30]
	v_add_f64 v[61:62], v[19:20], -v[12:13]
	v_fma_f64 v[37:38], v[37:38], -0.5, v[39:40]
	v_add_f64 v[39:40], v[25:26], -v[23:24]
	v_add_f64 v[21:22], v[35:36], v[45:46]
	v_add_f64 v[19:20], v[49:50], v[43:44]
	;; [unrolled: 1-line block ×5, first 2 shown]
	v_fma_f64 v[45:46], v[55:56], -0.5, v[10:11]
	v_add_f64 v[10:11], v[57:58], v[12:13]
	v_fma_f64 v[12:13], v[59:60], -0.5, v[8:9]
	v_add_f64 v[8:9], v[63:64], v[3:4]
	v_fma_f64 v[3:4], v[41:42], -0.5, v[17:18]
	s_addc_u32 s8, s5, s9
	s_lshl_b64 s[4:5], s[6:7], 4
	s_mul_i32 s0, s10, s15
	s_add_u32 s3, s3, s4
	v_mov_b32_e32 v52, v0
	v_mul_lo_u32 v1, v5, s2
	s_addc_u32 s4, s8, s5
	s_lshl_b64 s[0:1], s[0:1], 4
	v_add_f64 v[49:50], v[27:28], -v[29:30]
	v_add_f64 v[17:18], v[35:36], v[29:30]
	v_fma_f64 v[43:44], v[43:44], -0.5, v[15:16]
	v_add_f64 v[15:16], v[25:26], v[23:24]
	v_fma_f64 v[25:26], v[31:32], s[16:17], v[33:34]
	v_fma_f64 v[29:30], v[31:32], s[20:21], v[33:34]
	;; [unrolled: 1-line block ×8, first 2 shown]
	s_add_u32 s0, s3, s0
	v_lshlrev_b64 v[3:4], 4, v[51:52]
	s_addc_u32 s1, s4, s1
	v_mov_b32_e32 v0, s1
	v_add_co_u32_e32 v5, vcc, s0, v3
	v_fma_f64 v[31:32], v[61:62], s[20:21], v[12:13]
	v_fma_f64 v[35:36], v[61:62], s[16:17], v[12:13]
	v_addc_co_u32_e32 v12, vcc, v0, v4, vcc
	v_lshlrev_b64 v[3:4], 4, v[1:2]
	s_mul_i32 s0, s2, 0x51
	v_add_co_u32_e32 v3, vcc, v5, v3
	v_addc_co_u32_e32 v4, vcc, v12, v4, vcc
	v_add_u32_e32 v1, s0, v1
	global_store_dwordx4 v[3:4], v[19:22], off
	v_lshlrev_b64 v[3:4], 4, v[1:2]
	s_movk_i32 s1, 0xa2
	v_add_co_u32_e32 v3, vcc, v5, v3
	v_addc_co_u32_e32 v4, vcc, v12, v4, vcc
	v_add_u32_e32 v1, s0, v1
	v_mad_u32_u24 v0, v66, s1, v6
	global_store_dwordx4 v[3:4], v[27:30], off
	v_lshlrev_b64 v[3:4], 4, v[1:2]
	v_mul_lo_u32 v1, v0, s2
	v_add_co_u32_e32 v3, vcc, v5, v3
	v_addc_co_u32_e32 v4, vcc, v12, v4, vcc
	v_fma_f64 v[39:40], v[49:50], s[20:21], v[43:44]
	v_fma_f64 v[43:44], v[49:50], s[16:17], v[43:44]
	global_store_dwordx4 v[3:4], v[23:26], off
	v_lshlrev_b64 v[3:4], 4, v[1:2]
	v_add_u32_e32 v1, s0, v1
	v_add_co_u32_e32 v3, vcc, v5, v3
	v_addc_co_u32_e32 v4, vcc, v12, v4, vcc
	global_store_dwordx4 v[3:4], v[15:18], off
	v_lshlrev_b64 v[3:4], 4, v[1:2]
	v_add_u32_e32 v1, s0, v1
	v_add_co_u32_e32 v3, vcc, v5, v3
	v_addc_co_u32_e32 v4, vcc, v12, v4, vcc
	v_mad_u32_u24 v0, v65, s1, v7
	global_store_dwordx4 v[3:4], v[43:46], off
	v_lshlrev_b64 v[3:4], 4, v[1:2]
	v_mul_lo_u32 v1, v0, s2
	v_add_co_u32_e32 v3, vcc, v5, v3
	v_addc_co_u32_e32 v4, vcc, v12, v4, vcc
	global_store_dwordx4 v[3:4], v[39:42], off
	v_lshlrev_b64 v[3:4], 4, v[1:2]
	v_add_u32_e32 v1, s0, v1
	v_add_co_u32_e32 v3, vcc, v5, v3
	v_addc_co_u32_e32 v4, vcc, v12, v4, vcc
	global_store_dwordx4 v[3:4], v[8:11], off
	v_lshlrev_b64 v[3:4], 4, v[1:2]
	v_add_u32_e32 v1, s0, v1
	v_add_co_u32_e32 v3, vcc, v5, v3
	v_lshlrev_b64 v[0:1], 4, v[1:2]
	v_addc_co_u32_e32 v4, vcc, v12, v4, vcc
	v_add_co_u32_e32 v0, vcc, v5, v0
	v_addc_co_u32_e32 v1, vcc, v12, v1, vcc
	global_store_dwordx4 v[3:4], v[35:38], off
	global_store_dwordx4 v[0:1], v[31:34], off
.LBB0_12:
	s_endpgm
	.section	.rodata,"a",@progbits
	.p2align	6, 0x0
	.amdhsa_kernel fft_rtc_fwd_len243_factors_3_3_3_3_3_wgs_216_tpt_27_dp_op_CI_CI_sbrc_xy_z_unaligned_dirReg
		.amdhsa_group_segment_fixed_size 0
		.amdhsa_private_segment_fixed_size 0
		.amdhsa_kernarg_size 104
		.amdhsa_user_sgpr_count 6
		.amdhsa_user_sgpr_private_segment_buffer 1
		.amdhsa_user_sgpr_dispatch_ptr 0
		.amdhsa_user_sgpr_queue_ptr 0
		.amdhsa_user_sgpr_kernarg_segment_ptr 1
		.amdhsa_user_sgpr_dispatch_id 0
		.amdhsa_user_sgpr_flat_scratch_init 0
		.amdhsa_user_sgpr_private_segment_size 0
		.amdhsa_uses_dynamic_stack 0
		.amdhsa_system_sgpr_private_segment_wavefront_offset 0
		.amdhsa_system_sgpr_workgroup_id_x 1
		.amdhsa_system_sgpr_workgroup_id_y 0
		.amdhsa_system_sgpr_workgroup_id_z 0
		.amdhsa_system_sgpr_workgroup_info 0
		.amdhsa_system_vgpr_workitem_id 0
		.amdhsa_next_free_vgpr 67
		.amdhsa_next_free_sgpr 32
		.amdhsa_reserve_vcc 1
		.amdhsa_reserve_flat_scratch 0
		.amdhsa_float_round_mode_32 0
		.amdhsa_float_round_mode_16_64 0
		.amdhsa_float_denorm_mode_32 3
		.amdhsa_float_denorm_mode_16_64 3
		.amdhsa_dx10_clamp 1
		.amdhsa_ieee_mode 1
		.amdhsa_fp16_overflow 0
		.amdhsa_exception_fp_ieee_invalid_op 0
		.amdhsa_exception_fp_denorm_src 0
		.amdhsa_exception_fp_ieee_div_zero 0
		.amdhsa_exception_fp_ieee_overflow 0
		.amdhsa_exception_fp_ieee_underflow 0
		.amdhsa_exception_fp_ieee_inexact 0
		.amdhsa_exception_int_div_zero 0
	.end_amdhsa_kernel
	.text
.Lfunc_end0:
	.size	fft_rtc_fwd_len243_factors_3_3_3_3_3_wgs_216_tpt_27_dp_op_CI_CI_sbrc_xy_z_unaligned_dirReg, .Lfunc_end0-fft_rtc_fwd_len243_factors_3_3_3_3_3_wgs_216_tpt_27_dp_op_CI_CI_sbrc_xy_z_unaligned_dirReg
                                        ; -- End function
	.section	.AMDGPU.csdata,"",@progbits
; Kernel info:
; codeLenInByte = 6672
; NumSgprs: 36
; NumVgprs: 67
; ScratchSize: 0
; MemoryBound: 0
; FloatMode: 240
; IeeeMode: 1
; LDSByteSize: 0 bytes/workgroup (compile time only)
; SGPRBlocks: 4
; VGPRBlocks: 16
; NumSGPRsForWavesPerEU: 36
; NumVGPRsForWavesPerEU: 67
; Occupancy: 3
; WaveLimiterHint : 1
; COMPUTE_PGM_RSRC2:SCRATCH_EN: 0
; COMPUTE_PGM_RSRC2:USER_SGPR: 6
; COMPUTE_PGM_RSRC2:TRAP_HANDLER: 0
; COMPUTE_PGM_RSRC2:TGID_X_EN: 1
; COMPUTE_PGM_RSRC2:TGID_Y_EN: 0
; COMPUTE_PGM_RSRC2:TGID_Z_EN: 0
; COMPUTE_PGM_RSRC2:TIDIG_COMP_CNT: 0
	.type	__hip_cuid_9ff54f1694611dfb,@object ; @__hip_cuid_9ff54f1694611dfb
	.section	.bss,"aw",@nobits
	.globl	__hip_cuid_9ff54f1694611dfb
__hip_cuid_9ff54f1694611dfb:
	.byte	0                               ; 0x0
	.size	__hip_cuid_9ff54f1694611dfb, 1

	.ident	"AMD clang version 19.0.0git (https://github.com/RadeonOpenCompute/llvm-project roc-6.4.0 25133 c7fe45cf4b819c5991fe208aaa96edf142730f1d)"
	.section	".note.GNU-stack","",@progbits
	.addrsig
	.addrsig_sym __hip_cuid_9ff54f1694611dfb
	.amdgpu_metadata
---
amdhsa.kernels:
  - .args:
      - .actual_access:  read_only
        .address_space:  global
        .offset:         0
        .size:           8
        .value_kind:     global_buffer
      - .offset:         8
        .size:           8
        .value_kind:     by_value
      - .actual_access:  read_only
        .address_space:  global
        .offset:         16
        .size:           8
        .value_kind:     global_buffer
      - .actual_access:  read_only
        .address_space:  global
        .offset:         24
        .size:           8
        .value_kind:     global_buffer
      - .actual_access:  read_only
        .address_space:  global
        .offset:         32
        .size:           8
        .value_kind:     global_buffer
      - .offset:         40
        .size:           8
        .value_kind:     by_value
      - .actual_access:  read_only
        .address_space:  global
        .offset:         48
        .size:           8
        .value_kind:     global_buffer
      - .actual_access:  read_only
        .address_space:  global
        .offset:         56
        .size:           8
        .value_kind:     global_buffer
      - .offset:         64
        .size:           4
        .value_kind:     by_value
      - .actual_access:  read_only
        .address_space:  global
        .offset:         72
        .size:           8
        .value_kind:     global_buffer
      - .actual_access:  read_only
        .address_space:  global
        .offset:         80
        .size:           8
        .value_kind:     global_buffer
      - .actual_access:  read_only
        .address_space:  global
        .offset:         88
        .size:           8
        .value_kind:     global_buffer
      - .actual_access:  write_only
        .address_space:  global
        .offset:         96
        .size:           8
        .value_kind:     global_buffer
    .group_segment_fixed_size: 0
    .kernarg_segment_align: 8
    .kernarg_segment_size: 104
    .language:       OpenCL C
    .language_version:
      - 2
      - 0
    .max_flat_workgroup_size: 216
    .name:           fft_rtc_fwd_len243_factors_3_3_3_3_3_wgs_216_tpt_27_dp_op_CI_CI_sbrc_xy_z_unaligned_dirReg
    .private_segment_fixed_size: 0
    .sgpr_count:     36
    .sgpr_spill_count: 0
    .symbol:         fft_rtc_fwd_len243_factors_3_3_3_3_3_wgs_216_tpt_27_dp_op_CI_CI_sbrc_xy_z_unaligned_dirReg.kd
    .uniform_work_group_size: 1
    .uses_dynamic_stack: false
    .vgpr_count:     67
    .vgpr_spill_count: 0
    .wavefront_size: 64
amdhsa.target:   amdgcn-amd-amdhsa--gfx906
amdhsa.version:
  - 1
  - 2
...

	.end_amdgpu_metadata
